;; amdgpu-corpus repo=ROCm/rocFFT kind=compiled arch=gfx1030 opt=O3
	.text
	.amdgcn_target "amdgcn-amd-amdhsa--gfx1030"
	.amdhsa_code_object_version 6
	.protected	bluestein_single_back_len648_dim1_dp_op_CI_CI ; -- Begin function bluestein_single_back_len648_dim1_dp_op_CI_CI
	.globl	bluestein_single_back_len648_dim1_dp_op_CI_CI
	.p2align	8
	.type	bluestein_single_back_len648_dim1_dp_op_CI_CI,@function
bluestein_single_back_len648_dim1_dp_op_CI_CI: ; @bluestein_single_back_len648_dim1_dp_op_CI_CI
; %bb.0:
	s_load_dwordx4 s[0:3], s[4:5], 0x28
	v_mul_u32_u24_e32 v1, 0x130, v0
	v_mov_b32_e32 v65, 0
	v_lshrrev_b32_e32 v1, 16, v1
	v_add_nc_u32_e32 v64, s6, v1
	s_waitcnt lgkmcnt(0)
	v_cmp_gt_u64_e32 vcc_lo, s[0:1], v[64:65]
	s_and_saveexec_b32 s0, vcc_lo
	s_cbranch_execz .LBB0_15
; %bb.1:
	s_clause 0x1
	s_load_dwordx2 s[14:15], s[4:5], 0x0
	s_load_dwordx2 s[12:13], s[4:5], 0x38
	v_mul_lo_u16 v1, 0xd8, v1
	v_sub_nc_u16 v0, v0, v1
	v_and_b32_e32 v66, 0xffff, v0
	v_cmp_gt_u16_e32 vcc_lo, 0x51, v0
	v_lshlrev_b32_e32 v65, 4, v66
	s_and_saveexec_b32 s1, vcc_lo
	s_cbranch_execz .LBB0_3
; %bb.2:
	s_load_dwordx2 s[6:7], s[4:5], 0x18
	s_waitcnt lgkmcnt(0)
	v_add_co_u32 v18, s0, s14, v65
	v_add_co_ci_u32_e64 v19, null, s15, 0, s0
	s_load_dwordx4 s[8:11], s[6:7], 0x0
	s_clause 0x1
	global_load_dwordx4 v[0:3], v65, s[14:15]
	global_load_dwordx4 v[4:7], v65, s[14:15] offset:1296
	s_waitcnt lgkmcnt(0)
	v_mad_u64_u32 v[8:9], null, s10, v64, 0
	v_mad_u64_u32 v[10:11], null, s8, v66, 0
	s_mul_i32 s6, s9, 0x510
	s_mul_hi_u32 s7, s8, 0x510
	s_add_i32 s7, s7, s6
	v_mad_u64_u32 v[12:13], null, s11, v64, v[9:10]
	v_add_co_u32 v13, s0, 0x800, v18
	v_add_co_ci_u32_e64 v14, s0, 0, v19, s0
	v_add_co_u32 v56, s0, 0x2000, v18
	v_mad_u64_u32 v[15:16], null, s9, v66, v[11:12]
	v_mov_b32_e32 v9, v12
	v_add_co_ci_u32_e64 v57, s0, 0, v19, s0
	v_add_co_u32 v16, s0, 0x1000, v18
	v_lshlrev_b64 v[8:9], 4, v[8:9]
	v_mov_b32_e32 v11, v15
	v_add_co_ci_u32_e64 v17, s0, 0, v19, s0
	v_add_co_u32 v48, s0, 0x1800, v18
	v_add_co_ci_u32_e64 v49, s0, 0, v19, s0
	v_lshlrev_b64 v[10:11], 4, v[10:11]
	v_add_co_u32 v8, s0, s2, v8
	v_add_co_ci_u32_e64 v9, s0, s3, v9, s0
	s_mul_i32 s2, s8, 0x510
	v_add_co_u32 v20, s0, v8, v10
	v_add_co_ci_u32_e64 v21, s0, v9, v11, s0
	s_clause 0x1
	global_load_dwordx4 v[8:11], v[13:14], off offset:544
	global_load_dwordx4 v[12:15], v[13:14], off offset:1840
	v_add_co_u32 v24, s0, v20, s2
	v_add_co_ci_u32_e64 v25, s0, s7, v21, s0
	global_load_dwordx4 v[16:19], v[16:17], off offset:1088
	v_add_co_u32 v28, s0, v24, s2
	v_add_co_ci_u32_e64 v29, s0, s7, v25, s0
	s_clause 0x1
	global_load_dwordx4 v[20:23], v[20:21], off
	global_load_dwordx4 v[24:27], v[24:25], off
	v_add_co_u32 v32, s0, v28, s2
	v_add_co_ci_u32_e64 v33, s0, s7, v29, s0
	global_load_dwordx4 v[28:31], v[28:29], off
	v_add_co_u32 v36, s0, v32, s2
	v_add_co_ci_u32_e64 v37, s0, s7, v33, s0
	v_add_co_u32 v40, s0, v36, s2
	v_add_co_ci_u32_e64 v41, s0, s7, v37, s0
	s_clause 0x1
	global_load_dwordx4 v[32:35], v[32:33], off
	global_load_dwordx4 v[36:39], v[36:37], off
	v_add_co_u32 v52, s0, v40, s2
	v_add_co_ci_u32_e64 v53, s0, s7, v41, s0
	global_load_dwordx4 v[40:43], v[40:41], off
	v_add_co_u32 v60, s0, v52, s2
	v_add_co_ci_u32_e64 v61, s0, s7, v53, s0
	s_clause 0x1
	global_load_dwordx4 v[44:47], v[48:49], off offset:336
	global_load_dwordx4 v[48:51], v[48:49], off offset:1632
	global_load_dwordx4 v[52:55], v[52:53], off
	global_load_dwordx4 v[56:59], v[56:57], off offset:880
	global_load_dwordx4 v[60:63], v[60:61], off
	s_waitcnt vmcnt(10)
	v_mul_f64 v[67:68], v[22:23], v[2:3]
	v_mul_f64 v[2:3], v[20:21], v[2:3]
	s_waitcnt vmcnt(9)
	v_mul_f64 v[69:70], v[26:27], v[6:7]
	v_mul_f64 v[6:7], v[24:25], v[6:7]
	;; [unrolled: 3-line block ×8, first 2 shown]
	v_fma_f64 v[18:19], v[20:21], v[0:1], v[67:68]
	v_fma_f64 v[20:21], v[22:23], v[0:1], -v[2:3]
	v_fma_f64 v[0:1], v[24:25], v[4:5], v[69:70]
	v_fma_f64 v[2:3], v[26:27], v[4:5], -v[6:7]
	;; [unrolled: 2-line block ×8, first 2 shown]
	ds_write_b128 v65, v[18:21]
	ds_write_b128 v65, v[0:3] offset:1296
	ds_write_b128 v65, v[4:7] offset:2592
	;; [unrolled: 1-line block ×7, first 2 shown]
.LBB0_3:
	s_or_b32 exec_lo, exec_lo, s1
	s_clause 0x1
	s_load_dwordx2 s[2:3], s[4:5], 0x20
	s_load_dwordx2 s[0:1], s[4:5], 0x8
	s_waitcnt lgkmcnt(0)
	s_barrier
	buffer_gl0_inv
                                        ; implicit-def: $vgpr0_vgpr1
                                        ; implicit-def: $vgpr8_vgpr9
                                        ; implicit-def: $vgpr16_vgpr17
                                        ; implicit-def: $vgpr28_vgpr29
                                        ; implicit-def: $vgpr24_vgpr25
                                        ; implicit-def: $vgpr20_vgpr21
                                        ; implicit-def: $vgpr12_vgpr13
                                        ; implicit-def: $vgpr4_vgpr5
	s_and_saveexec_b32 s4, vcc_lo
	s_cbranch_execz .LBB0_5
; %bb.4:
	ds_read_b128 v[0:3], v65
	ds_read_b128 v[4:7], v65 offset:1296
	ds_read_b128 v[8:11], v65 offset:2592
	;; [unrolled: 1-line block ×7, first 2 shown]
.LBB0_5:
	s_or_b32 exec_lo, exec_lo, s4
	s_waitcnt lgkmcnt(3)
	v_add_f64 v[20:21], v[0:1], -v[20:21]
	v_add_f64 v[22:23], v[2:3], -v[22:23]
	s_waitcnt lgkmcnt(1)
	v_add_f64 v[24:25], v[8:9], -v[24:25]
	v_add_f64 v[26:27], v[10:11], -v[26:27]
	;; [unrolled: 1-line block ×4, first 2 shown]
	s_waitcnt lgkmcnt(0)
	v_add_f64 v[28:29], v[12:13], -v[28:29]
	v_add_f64 v[30:31], v[14:15], -v[30:31]
	s_mov_b32 s4, 0x667f3bcd
	s_mov_b32 s5, 0xbfe6a09e
	;; [unrolled: 1-line block ×4, first 2 shown]
	v_lshlrev_b16 v67, 3, v66
	s_barrier
	buffer_gl0_inv
	v_fma_f64 v[32:33], v[0:1], 2.0, -v[20:21]
	v_fma_f64 v[34:35], v[2:3], 2.0, -v[22:23]
	;; [unrolled: 1-line block ×6, first 2 shown]
	v_add_f64 v[26:27], v[20:21], -v[26:27]
	v_add_f64 v[24:25], v[24:25], v[22:23]
	v_fma_f64 v[4:5], v[12:13], 2.0, -v[28:29]
	v_fma_f64 v[8:9], v[14:15], 2.0, -v[30:31]
	v_add_f64 v[12:13], v[16:17], -v[30:31]
	v_add_f64 v[14:15], v[28:29], v[18:19]
	v_add_f64 v[0:1], v[32:33], -v[0:1]
	v_add_f64 v[10:11], v[34:35], -v[2:3]
	v_fma_f64 v[2:3], v[20:21], 2.0, -v[26:27]
	v_fma_f64 v[6:7], v[22:23], 2.0, -v[24:25]
	v_add_f64 v[20:21], v[36:37], -v[4:5]
	v_add_f64 v[22:23], v[38:39], -v[8:9]
	v_fma_f64 v[16:17], v[16:17], 2.0, -v[12:13]
	v_fma_f64 v[18:19], v[18:19], 2.0, -v[14:15]
	v_fma_f64 v[28:29], v[12:13], s[6:7], v[26:27]
	v_fma_f64 v[30:31], v[14:15], s[6:7], v[24:25]
	v_fma_f64 v[4:5], v[32:33], 2.0, -v[0:1]
	v_fma_f64 v[8:9], v[34:35], 2.0, -v[10:11]
	;; [unrolled: 1-line block ×4, first 2 shown]
	v_fma_f64 v[44:45], v[16:17], s[4:5], v[2:3]
	v_fma_f64 v[46:47], v[18:19], s[4:5], v[6:7]
	;; [unrolled: 1-line block ×4, first 2 shown]
	v_add_f64 v[36:37], v[0:1], -v[22:23]
	v_add_f64 v[38:39], v[10:11], v[20:21]
	v_add_f64 v[20:21], v[4:5], -v[32:33]
	v_add_f64 v[22:23], v[8:9], -v[34:35]
	v_fma_f64 v[32:33], v[18:19], s[4:5], v[44:45]
	v_fma_f64 v[34:35], v[16:17], s[6:7], v[46:47]
	v_fma_f64 v[16:17], v[26:27], 2.0, -v[40:41]
	v_fma_f64 v[18:19], v[24:25], 2.0, -v[42:43]
	s_and_saveexec_b32 s4, vcc_lo
	s_cbranch_execz .LBB0_7
; %bb.6:
	v_fma_f64 v[14:15], v[8:9], 2.0, -v[22:23]
	v_fma_f64 v[12:13], v[4:5], 2.0, -v[20:21]
	;; [unrolled: 1-line block ×6, first 2 shown]
	v_mov_b32_e32 v0, 4
	v_lshlrev_b32_sdwa v0, v0, v67 dst_sel:DWORD dst_unused:UNUSED_PAD src0_sel:DWORD src1_sel:WORD_0
	ds_write_b128 v0, v[16:19] offset:48
	ds_write_b128 v0, v[20:23] offset:64
	;; [unrolled: 1-line block ×4, first 2 shown]
	ds_write_b128 v0, v[12:15]
	ds_write_b128 v0, v[4:7] offset:16
	ds_write_b128 v0, v[8:11] offset:32
	;; [unrolled: 1-line block ×3, first 2 shown]
.LBB0_7:
	s_or_b32 exec_lo, exec_lo, s4
	v_and_b32_e32 v50, 7, v66
	s_load_dwordx4 s[4:7], s[2:3], 0x0
	s_waitcnt lgkmcnt(0)
	s_barrier
	buffer_gl0_inv
	v_lshlrev_b32_e32 v0, 5, v50
	v_and_b32_e32 v58, 0xff, v66
	s_mov_b32 s2, 0xe8584caa
	s_mov_b32 s3, 0x3febb67a
	s_mov_b32 s9, 0xbfebb67a
	s_clause 0x1
	global_load_dwordx4 v[4:7], v0, s[0:1]
	global_load_dwordx4 v[0:3], v0, s[0:1] offset:16
	ds_read_b128 v[8:11], v65 offset:3456
	ds_read_b128 v[12:15], v65 offset:6912
	s_mov_b32 s8, s2
	v_lshrrev_b32_e32 v51, 3, v66
	v_lshlrev_b32_e32 v74, 5, v66
	s_waitcnt vmcnt(1) lgkmcnt(1)
	v_mul_f64 v[24:25], v[10:11], v[6:7]
	s_waitcnt vmcnt(0) lgkmcnt(0)
	v_mul_f64 v[26:27], v[14:15], v[2:3]
	v_mul_f64 v[28:29], v[8:9], v[6:7]
	;; [unrolled: 1-line block ×3, first 2 shown]
	v_fma_f64 v[24:25], v[8:9], v[4:5], -v[24:25]
	v_fma_f64 v[12:13], v[12:13], v[0:1], -v[26:27]
	v_fma_f64 v[26:27], v[10:11], v[4:5], v[28:29]
	v_fma_f64 v[14:15], v[14:15], v[0:1], v[30:31]
	ds_read_b128 v[8:11], v65
	s_waitcnt lgkmcnt(0)
	s_barrier
	buffer_gl0_inv
	v_add_f64 v[28:29], v[24:25], v[12:13]
	v_add_f64 v[44:45], v[8:9], v[24:25]
	;; [unrolled: 1-line block ×3, first 2 shown]
	v_add_f64 v[46:47], v[26:27], -v[14:15]
	v_add_f64 v[26:27], v[10:11], v[26:27]
	v_add_f64 v[48:49], v[24:25], -v[12:13]
	v_fma_f64 v[28:29], v[28:29], -0.5, v[8:9]
	v_mul_lo_u16 v8, 0xab, v58
	v_fma_f64 v[30:31], v[30:31], -0.5, v[10:11]
	v_add_f64 v[10:11], v[26:27], v[14:15]
	v_lshrrev_b16 v59, 12, v8
	v_add_f64 v[8:9], v[44:45], v[12:13]
	v_fma_f64 v[12:13], v[46:47], s[2:3], v[28:29]
	v_fma_f64 v[24:25], v[46:47], s[8:9], v[28:29]
	;; [unrolled: 1-line block ×4, first 2 shown]
	v_mul_lo_u16 v28, v59, 24
	v_mul_u32_u24_e32 v29, 24, v51
	v_sub_nc_u16 v28, v66, v28
	v_or_b32_e32 v29, v29, v50
	v_and_b32_e32 v60, 0xff, v28
	v_lshlrev_b32_e32 v68, 4, v29
	ds_write_b128 v68, v[8:11]
	ds_write_b128 v68, v[12:15] offset:128
	ds_write_b128 v68, v[24:27] offset:256
	v_lshlrev_b32_e32 v28, 5, v60
	s_waitcnt lgkmcnt(0)
	s_barrier
	buffer_gl0_inv
	s_clause 0x1
	global_load_dwordx4 v[12:15], v28, s[0:1] offset:256
	global_load_dwordx4 v[8:11], v28, s[0:1] offset:272
	ds_read_b128 v[24:27], v65 offset:3456
	ds_read_b128 v[28:31], v65 offset:6912
	s_waitcnt vmcnt(1) lgkmcnt(1)
	v_mul_f64 v[44:45], v[26:27], v[14:15]
	s_waitcnt vmcnt(0) lgkmcnt(0)
	v_mul_f64 v[46:47], v[30:31], v[10:11]
	v_mul_f64 v[48:49], v[24:25], v[14:15]
	;; [unrolled: 1-line block ×3, first 2 shown]
	v_fma_f64 v[44:45], v[24:25], v[12:13], -v[44:45]
	v_fma_f64 v[28:29], v[28:29], v[8:9], -v[46:47]
	v_fma_f64 v[46:47], v[26:27], v[12:13], v[48:49]
	v_fma_f64 v[30:31], v[30:31], v[8:9], v[50:51]
	ds_read_b128 v[24:27], v65
	s_waitcnt lgkmcnt(0)
	s_barrier
	buffer_gl0_inv
	v_add_f64 v[48:49], v[44:45], v[28:29]
	v_add_f64 v[52:53], v[24:25], v[44:45]
	;; [unrolled: 1-line block ×3, first 2 shown]
	v_add_f64 v[54:55], v[46:47], -v[30:31]
	v_add_f64 v[46:47], v[26:27], v[46:47]
	v_add_f64 v[56:57], v[44:45], -v[28:29]
	v_fma_f64 v[48:49], v[48:49], -0.5, v[24:25]
	v_mul_lo_u16 v24, v58, 57
	v_fma_f64 v[50:51], v[50:51], -0.5, v[26:27]
	v_add_f64 v[26:27], v[46:47], v[30:31]
	v_lshrrev_b16 v72, 12, v24
	v_add_f64 v[24:25], v[52:53], v[28:29]
	v_fma_f64 v[28:29], v[54:55], s[2:3], v[48:49]
	v_fma_f64 v[44:45], v[54:55], s[8:9], v[48:49]
	v_fma_f64 v[30:31], v[56:57], s[8:9], v[50:51]
	v_fma_f64 v[46:47], v[56:57], s[2:3], v[50:51]
	v_mul_lo_u16 v48, 0x48, v72
	v_mov_b32_e32 v49, 0x48
	v_sub_nc_u16 v48, v66, v48
	v_mul_u32_u24_sdwa v49, v59, v49 dst_sel:DWORD dst_unused:UNUSED_PAD src0_sel:WORD_0 src1_sel:DWORD
	v_and_b32_e32 v73, 0xff, v48
	v_add_lshl_u32 v69, v49, v60, 4
	ds_write_b128 v69, v[24:27]
	ds_write_b128 v69, v[28:31] offset:384
	ds_write_b128 v69, v[44:47] offset:768
	v_lshlrev_b32_e32 v48, 5, v73
	s_waitcnt lgkmcnt(0)
	s_barrier
	buffer_gl0_inv
	s_clause 0x1
	global_load_dwordx4 v[28:31], v48, s[0:1] offset:1024
	global_load_dwordx4 v[24:27], v48, s[0:1] offset:1040
	ds_read_b128 v[44:47], v65 offset:3456
	ds_read_b128 v[48:51], v65 offset:6912
	s_waitcnt vmcnt(1) lgkmcnt(1)
	v_mul_f64 v[52:53], v[46:47], v[30:31]
	s_waitcnt vmcnt(0) lgkmcnt(0)
	v_mul_f64 v[54:55], v[50:51], v[26:27]
	v_mul_f64 v[56:57], v[44:45], v[30:31]
	;; [unrolled: 1-line block ×3, first 2 shown]
	v_fma_f64 v[52:53], v[44:45], v[28:29], -v[52:53]
	v_fma_f64 v[48:49], v[48:49], v[24:25], -v[54:55]
	v_fma_f64 v[54:55], v[46:47], v[28:29], v[56:57]
	v_fma_f64 v[50:51], v[50:51], v[24:25], v[58:59]
	ds_read_b128 v[44:47], v65
	s_waitcnt lgkmcnt(0)
	s_barrier
	buffer_gl0_inv
	v_add_f64 v[56:57], v[52:53], v[48:49]
	v_add_f64 v[60:61], v[44:45], v[52:53]
	;; [unrolled: 1-line block ×3, first 2 shown]
	v_add_f64 v[62:63], v[54:55], -v[50:51]
	v_add_f64 v[54:55], v[46:47], v[54:55]
	v_add_f64 v[70:71], v[52:53], -v[48:49]
	v_fma_f64 v[56:57], v[56:57], -0.5, v[44:45]
	v_add_f64 v[44:45], v[60:61], v[48:49]
	v_fma_f64 v[58:59], v[58:59], -0.5, v[46:47]
	v_add_f64 v[46:47], v[54:55], v[50:51]
	v_fma_f64 v[48:49], v[62:63], s[2:3], v[56:57]
	v_fma_f64 v[52:53], v[62:63], s[8:9], v[56:57]
	;; [unrolled: 1-line block ×4, first 2 shown]
	v_mov_b32_e32 v56, 0xd8
	v_add_co_u32 v58, s0, s0, v74
	v_add_co_ci_u32_e64 v59, null, s1, 0, s0
	v_mul_u32_u24_sdwa v60, v72, v56 dst_sel:DWORD dst_unused:UNUSED_PAD src0_sel:WORD_0 src1_sel:DWORD
	v_add_co_u32 v56, s0, 0xd00, v58
	v_add_co_ci_u32_e64 v57, s0, 0, v59, s0
	v_add_co_u32 v58, s0, 0x800, v58
	v_add_lshl_u32 v70, v60, v73, 4
	v_add_co_ci_u32_e64 v59, s0, 0, v59, s0
	ds_write_b128 v70, v[44:47]
	ds_write_b128 v70, v[48:51] offset:1152
	ds_write_b128 v70, v[52:55] offset:2304
	s_waitcnt lgkmcnt(0)
	s_barrier
	buffer_gl0_inv
	s_clause 0x1
	global_load_dwordx4 v[44:47], v[58:59], off offset:1280
	global_load_dwordx4 v[48:51], v[56:57], off offset:16
	ds_read_b128 v[52:55], v65 offset:3456
	ds_read_b128 v[56:59], v65 offset:6912
	s_waitcnt vmcnt(1) lgkmcnt(1)
	v_mul_f64 v[60:61], v[54:55], v[46:47]
	s_waitcnt vmcnt(0) lgkmcnt(0)
	v_mul_f64 v[62:63], v[58:59], v[50:51]
	v_mul_f64 v[71:72], v[52:53], v[46:47]
	;; [unrolled: 1-line block ×3, first 2 shown]
	v_fma_f64 v[60:61], v[52:53], v[44:45], -v[60:61]
	v_fma_f64 v[56:57], v[56:57], v[48:49], -v[62:63]
	v_fma_f64 v[62:63], v[54:55], v[44:45], v[71:72]
	v_fma_f64 v[58:59], v[58:59], v[48:49], v[73:74]
	ds_read_b128 v[52:55], v65
	v_add_f64 v[71:72], v[60:61], v[56:57]
	s_waitcnt lgkmcnt(0)
	v_add_f64 v[75:76], v[52:53], v[60:61]
	v_add_f64 v[73:74], v[62:63], v[58:59]
	v_add_f64 v[77:78], v[62:63], -v[58:59]
	v_add_f64 v[62:63], v[54:55], v[62:63]
	v_add_f64 v[79:80], v[60:61], -v[56:57]
	v_fma_f64 v[71:72], v[71:72], -0.5, v[52:53]
	v_add_f64 v[52:53], v[75:76], v[56:57]
	v_fma_f64 v[73:74], v[73:74], -0.5, v[54:55]
	v_add_f64 v[54:55], v[62:63], v[58:59]
	v_fma_f64 v[56:57], v[77:78], s[2:3], v[71:72]
	v_fma_f64 v[60:61], v[77:78], s[8:9], v[71:72]
	;; [unrolled: 1-line block ×4, first 2 shown]
	ds_write_b128 v65, v[52:55]
	ds_write_b128 v65, v[56:59] offset:3456
	ds_write_b128 v65, v[60:63] offset:6912
	s_waitcnt lgkmcnt(0)
	s_barrier
	buffer_gl0_inv
	s_and_saveexec_b32 s1, vcc_lo
	s_cbranch_execz .LBB0_9
; %bb.8:
	v_add_co_u32 v91, s0, s14, v65
	v_add_co_ci_u32_e64 v92, null, s15, 0, s0
	v_add_co_u32 v71, s0, 0x2800, v91
	v_add_co_ci_u32_e64 v72, s0, 0, v92, s0
	v_add_co_u32 v75, s0, 0x2880, v91
	v_add_co_ci_u32_e64 v76, s0, 0, v92, s0
	;; [unrolled: 2-line block ×4, first 2 shown]
	v_add_co_u32 v95, s0, 0x4000, v91
	s_clause 0x1
	global_load_dwordx4 v[71:74], v[71:72], off offset:128
	global_load_dwordx4 v[75:78], v[75:76], off offset:1296
	v_add_co_ci_u32_e64 v96, s0, 0, v92, s0
	v_add_co_u32 v99, s0, 0x4800, v91
	s_clause 0x2
	global_load_dwordx4 v[79:82], v[83:84], off offset:672
	global_load_dwordx4 v[83:86], v[83:84], off offset:1968
	;; [unrolled: 1-line block ×3, first 2 shown]
	v_add_co_ci_u32_e64 v100, s0, 0, v92, s0
	s_clause 0x2
	global_load_dwordx4 v[91:94], v[95:96], off offset:464
	global_load_dwordx4 v[95:98], v[95:96], off offset:1760
	;; [unrolled: 1-line block ×3, first 2 shown]
	ds_read_b128 v[103:106], v65
	ds_read_b128 v[107:110], v65 offset:1296
	ds_read_b128 v[111:114], v65 offset:2592
	;; [unrolled: 1-line block ×7, first 2 shown]
	s_waitcnt vmcnt(7) lgkmcnt(7)
	v_mul_f64 v[135:136], v[105:106], v[73:74]
	v_mul_f64 v[73:74], v[103:104], v[73:74]
	s_waitcnt vmcnt(6) lgkmcnt(6)
	v_mul_f64 v[137:138], v[109:110], v[77:78]
	v_mul_f64 v[77:78], v[107:108], v[77:78]
	;; [unrolled: 3-line block ×8, first 2 shown]
	v_fma_f64 v[101:102], v[103:104], v[71:72], -v[135:136]
	v_fma_f64 v[103:104], v[105:106], v[71:72], v[73:74]
	v_fma_f64 v[71:72], v[107:108], v[75:76], -v[137:138]
	v_fma_f64 v[73:74], v[109:110], v[75:76], v[77:78]
	;; [unrolled: 2-line block ×8, first 2 shown]
	ds_write_b128 v65, v[101:104]
	ds_write_b128 v65, v[71:74] offset:1296
	ds_write_b128 v65, v[75:78] offset:2592
	;; [unrolled: 1-line block ×7, first 2 shown]
.LBB0_9:
	s_or_b32 exec_lo, exec_lo, s1
	s_waitcnt lgkmcnt(0)
	s_barrier
	buffer_gl0_inv
	s_and_saveexec_b32 s0, vcc_lo
	s_cbranch_execz .LBB0_11
; %bb.10:
	ds_read_b128 v[52:55], v65
	ds_read_b128 v[56:59], v65 offset:1296
	ds_read_b128 v[60:63], v65 offset:2592
	;; [unrolled: 1-line block ×7, first 2 shown]
.LBB0_11:
	s_or_b32 exec_lo, exec_lo, s0
	s_waitcnt lgkmcnt(0)
	s_barrier
	buffer_gl0_inv
	s_and_saveexec_b32 s0, vcc_lo
	s_cbranch_execz .LBB0_13
; %bb.12:
	v_add_f64 v[22:23], v[54:55], -v[22:23]
	v_add_f64 v[36:37], v[60:61], -v[36:37]
	;; [unrolled: 1-line block ×8, first 2 shown]
	s_mov_b32 s2, 0x667f3bcd
	s_mov_b32 s3, 0x3fe6a09e
	s_mov_b32 s9, 0xbfe6a09e
	s_mov_b32 s8, s2
	v_fma_f64 v[54:55], v[54:55], 2.0, -v[22:23]
	v_add_f64 v[71:72], v[22:23], -v[36:37]
	v_fma_f64 v[36:37], v[60:61], 2.0, -v[36:37]
	v_add_f64 v[73:74], v[34:35], -v[40:41]
	v_fma_f64 v[62:63], v[62:63], 2.0, -v[38:39]
	v_fma_f64 v[56:57], v[56:57], 2.0, -v[32:33]
	v_fma_f64 v[16:17], v[16:17], 2.0, -v[40:41]
	v_fma_f64 v[40:41], v[52:53], 2.0, -v[20:21]
	v_fma_f64 v[52:53], v[58:59], 2.0, -v[34:35]
	v_fma_f64 v[18:19], v[18:19], 2.0, -v[42:43]
	v_add_f64 v[42:43], v[42:43], v[32:33]
	v_add_f64 v[58:59], v[38:39], v[20:21]
	v_fma_f64 v[75:76], v[34:35], 2.0, -v[73:74]
	v_add_f64 v[60:61], v[54:55], -v[62:63]
	v_fma_f64 v[62:63], v[22:23], 2.0, -v[71:72]
	v_add_f64 v[16:17], v[56:57], -v[16:17]
	v_add_f64 v[77:78], v[40:41], -v[36:37]
	;; [unrolled: 1-line block ×3, first 2 shown]
	v_fma_f64 v[32:33], v[32:33], 2.0, -v[42:43]
	v_fma_f64 v[79:80], v[20:21], 2.0, -v[58:59]
	v_fma_f64 v[18:19], v[73:74], s[2:3], v[71:72]
	v_fma_f64 v[36:37], v[42:43], s[2:3], v[58:59]
	v_fma_f64 v[81:82], v[54:55], 2.0, -v[60:61]
	v_fma_f64 v[38:39], v[75:76], s[8:9], v[62:63]
	v_add_f64 v[22:23], v[60:61], -v[16:17]
	v_fma_f64 v[83:84], v[40:41], 2.0, -v[77:78]
	v_fma_f64 v[40:41], v[56:57], 2.0, -v[16:17]
	;; [unrolled: 1-line block ×3, first 2 shown]
	v_add_f64 v[20:21], v[77:78], v[34:35]
	v_fma_f64 v[54:55], v[32:33], s[8:9], v[79:80]
	v_fma_f64 v[18:19], v[42:43], s[8:9], v[18:19]
	;; [unrolled: 1-line block ×4, first 2 shown]
	v_add_f64 v[36:37], v[83:84], -v[40:41]
	v_add_f64 v[38:39], v[81:82], -v[52:53]
	v_fma_f64 v[52:53], v[77:78], 2.0, -v[20:21]
	v_fma_f64 v[32:33], v[75:76], s[2:3], v[54:55]
	v_fma_f64 v[54:55], v[60:61], 2.0, -v[22:23]
	v_fma_f64 v[42:43], v[71:72], 2.0, -v[18:19]
	;; [unrolled: 1-line block ×3, first 2 shown]
	v_mov_b32_e32 v71, 4
	v_lshlrev_b32_sdwa v67, v71, v67 dst_sel:DWORD dst_unused:UNUSED_PAD src0_sel:DWORD src1_sel:WORD_0
	v_fma_f64 v[58:59], v[62:63], 2.0, -v[34:35]
	v_fma_f64 v[60:61], v[83:84], 2.0, -v[36:37]
	v_fma_f64 v[62:63], v[81:82], 2.0, -v[38:39]
	v_fma_f64 v[56:57], v[79:80], 2.0, -v[32:33]
	ds_write_b128 v67, v[20:23] offset:96
	ds_write_b128 v67, v[52:55] offset:32
	;; [unrolled: 1-line block ×5, first 2 shown]
	ds_write_b128 v67, v[60:63]
	ds_write_b128 v67, v[56:59] offset:16
	ds_write_b128 v67, v[16:19] offset:112
.LBB0_13:
	s_or_b32 exec_lo, exec_lo, s0
	s_waitcnt lgkmcnt(0)
	s_barrier
	buffer_gl0_inv
	ds_read_b128 v[16:19], v65 offset:3456
	ds_read_b128 v[20:23], v65 offset:6912
	s_mov_b32 s0, 0xe8584caa
	s_mov_b32 s1, 0xbfebb67a
	s_mov_b32 s3, 0x3febb67a
	s_mov_b32 s2, s0
	s_waitcnt lgkmcnt(1)
	v_mul_f64 v[32:33], v[6:7], v[18:19]
	s_waitcnt lgkmcnt(0)
	v_mul_f64 v[34:35], v[2:3], v[22:23]
	v_mul_f64 v[6:7], v[6:7], v[16:17]
	v_mul_f64 v[2:3], v[2:3], v[20:21]
	v_fma_f64 v[16:17], v[4:5], v[16:17], v[32:33]
	v_fma_f64 v[20:21], v[0:1], v[20:21], v[34:35]
	v_fma_f64 v[4:5], v[4:5], v[18:19], -v[6:7]
	v_fma_f64 v[6:7], v[0:1], v[22:23], -v[2:3]
	ds_read_b128 v[0:3], v65
	s_waitcnt lgkmcnt(0)
	s_barrier
	buffer_gl0_inv
	v_add_f64 v[18:19], v[16:17], v[20:21]
	v_add_f64 v[32:33], v[0:1], v[16:17]
	v_add_f64 v[22:23], v[4:5], v[6:7]
	v_add_f64 v[34:35], v[4:5], -v[6:7]
	v_add_f64 v[4:5], v[2:3], v[4:5]
	v_add_f64 v[36:37], v[16:17], -v[20:21]
	v_fma_f64 v[18:19], v[18:19], -0.5, v[0:1]
	v_add_f64 v[0:1], v[32:33], v[20:21]
	v_fma_f64 v[22:23], v[22:23], -0.5, v[2:3]
	v_add_f64 v[2:3], v[4:5], v[6:7]
	v_fma_f64 v[4:5], v[34:35], s[0:1], v[18:19]
	v_fma_f64 v[16:17], v[34:35], s[2:3], v[18:19]
	v_fma_f64 v[6:7], v[36:37], s[2:3], v[22:23]
	v_fma_f64 v[18:19], v[36:37], s[0:1], v[22:23]
	ds_write_b128 v68, v[0:3]
	ds_write_b128 v68, v[4:7] offset:128
	ds_write_b128 v68, v[16:19] offset:256
	s_waitcnt lgkmcnt(0)
	s_barrier
	buffer_gl0_inv
	ds_read_b128 v[0:3], v65 offset:3456
	ds_read_b128 v[4:7], v65 offset:6912
	s_waitcnt lgkmcnt(1)
	v_mul_f64 v[16:17], v[14:15], v[2:3]
	s_waitcnt lgkmcnt(0)
	v_mul_f64 v[18:19], v[10:11], v[6:7]
	v_mul_f64 v[14:15], v[14:15], v[0:1]
	v_mul_f64 v[10:11], v[10:11], v[4:5]
	v_fma_f64 v[16:17], v[12:13], v[0:1], v[16:17]
	v_fma_f64 v[4:5], v[8:9], v[4:5], v[18:19]
	v_fma_f64 v[12:13], v[12:13], v[2:3], -v[14:15]
	v_fma_f64 v[6:7], v[8:9], v[6:7], -v[10:11]
	ds_read_b128 v[0:3], v65
	s_waitcnt lgkmcnt(0)
	s_barrier
	buffer_gl0_inv
	v_add_f64 v[8:9], v[16:17], v[4:5]
	v_add_f64 v[14:15], v[0:1], v[16:17]
	v_add_f64 v[10:11], v[12:13], v[6:7]
	v_add_f64 v[18:19], v[12:13], -v[6:7]
	v_add_f64 v[12:13], v[2:3], v[12:13]
	v_add_f64 v[16:17], v[16:17], -v[4:5]
	v_fma_f64 v[8:9], v[8:9], -0.5, v[0:1]
	v_add_f64 v[0:1], v[14:15], v[4:5]
	v_fma_f64 v[10:11], v[10:11], -0.5, v[2:3]
	v_add_f64 v[2:3], v[12:13], v[6:7]
	v_fma_f64 v[4:5], v[18:19], s[0:1], v[8:9]
	v_fma_f64 v[8:9], v[18:19], s[2:3], v[8:9]
	v_fma_f64 v[6:7], v[16:17], s[2:3], v[10:11]
	v_fma_f64 v[10:11], v[16:17], s[0:1], v[10:11]
	ds_write_b128 v69, v[0:3]
	ds_write_b128 v69, v[4:7] offset:384
	ds_write_b128 v69, v[8:11] offset:768
	s_waitcnt lgkmcnt(0)
	s_barrier
	buffer_gl0_inv
	ds_read_b128 v[0:3], v65 offset:3456
	ds_read_b128 v[4:7], v65 offset:6912
	;; [unrolled: 36-line block ×3, first 2 shown]
	s_waitcnt lgkmcnt(1)
	v_mul_f64 v[8:9], v[46:47], v[2:3]
	s_waitcnt lgkmcnt(0)
	v_mul_f64 v[10:11], v[50:51], v[6:7]
	v_mul_f64 v[12:13], v[46:47], v[0:1]
	;; [unrolled: 1-line block ×3, first 2 shown]
	v_fma_f64 v[8:9], v[44:45], v[0:1], v[8:9]
	v_fma_f64 v[4:5], v[48:49], v[4:5], v[10:11]
	v_fma_f64 v[10:11], v[44:45], v[2:3], -v[12:13]
	v_fma_f64 v[6:7], v[48:49], v[6:7], -v[14:15]
	ds_read_b128 v[0:3], v65
	v_add_f64 v[12:13], v[8:9], v[4:5]
	s_waitcnt lgkmcnt(0)
	v_add_f64 v[16:17], v[0:1], v[8:9]
	v_add_f64 v[14:15], v[10:11], v[6:7]
	v_add_f64 v[18:19], v[10:11], -v[6:7]
	v_add_f64 v[10:11], v[2:3], v[10:11]
	v_add_f64 v[20:21], v[8:9], -v[4:5]
	v_fma_f64 v[12:13], v[12:13], -0.5, v[0:1]
	v_add_f64 v[0:1], v[16:17], v[4:5]
	v_fma_f64 v[14:15], v[14:15], -0.5, v[2:3]
	v_add_f64 v[2:3], v[10:11], v[6:7]
	v_fma_f64 v[4:5], v[18:19], s[0:1], v[12:13]
	v_fma_f64 v[8:9], v[18:19], s[2:3], v[12:13]
	;; [unrolled: 1-line block ×4, first 2 shown]
	ds_write_b128 v65, v[0:3]
	ds_write_b128 v65, v[4:7] offset:3456
	ds_write_b128 v65, v[8:11] offset:6912
	s_waitcnt lgkmcnt(0)
	s_barrier
	buffer_gl0_inv
	s_and_b32 exec_lo, exec_lo, vcc_lo
	s_cbranch_execz .LBB0_15
; %bb.14:
	v_add_co_u32 v20, s0, s14, v65
	v_add_co_ci_u32_e64 v21, null, s15, 0, s0
	v_mad_u64_u32 v[40:41], null, s6, v64, 0
	v_add_co_u32 v12, vcc_lo, 0x800, v20
	v_add_co_ci_u32_e32 v13, vcc_lo, 0, v21, vcc_lo
	v_add_co_u32 v16, vcc_lo, 0x1000, v20
	v_add_co_ci_u32_e32 v17, vcc_lo, 0, v21, vcc_lo
	;; [unrolled: 2-line block ×3, first 2 shown]
	v_add_co_u32 v28, vcc_lo, 0x2000, v20
	s_clause 0x4
	global_load_dwordx4 v[0:3], v65, s[14:15]
	global_load_dwordx4 v[4:7], v65, s[14:15] offset:1296
	global_load_dwordx4 v[8:11], v[12:13], off offset:544
	global_load_dwordx4 v[12:15], v[12:13], off offset:1840
	global_load_dwordx4 v[16:19], v[16:17], off offset:1088
	v_add_co_ci_u32_e32 v29, vcc_lo, 0, v21, vcc_lo
	s_clause 0x2
	global_load_dwordx4 v[20:23], v[24:25], off offset:336
	global_load_dwordx4 v[24:27], v[24:25], off offset:1632
	;; [unrolled: 1-line block ×3, first 2 shown]
	v_mad_u64_u32 v[56:57], null, s4, v66, 0
	v_mov_b32_e32 v32, v41
	s_mul_i32 s0, s5, 0x510
	s_mul_hi_u32 s1, s4, 0x510
	s_mul_i32 s2, s4, 0x510
	s_add_i32 s3, s1, s0
	s_mov_b32 s0, 0xfcd6e9e0
	v_mov_b32_e32 v33, v57
	s_mov_b32 s1, 0x3f5948b0
	v_mad_u64_u32 v[41:42], null, s7, v64, v[32:33]
	v_mad_u64_u32 v[42:43], null, s5, v66, v[33:34]
	ds_read_b128 v[32:35], v65
	ds_read_b128 v[36:39], v65 offset:1296
	v_lshlrev_b64 v[58:59], 4, v[40:41]
	v_mov_b32_e32 v57, v42
	ds_read_b128 v[40:43], v65 offset:2592
	ds_read_b128 v[44:47], v65 offset:3888
	;; [unrolled: 1-line block ×4, first 2 shown]
	v_add_co_u32 v64, vcc_lo, s12, v58
	v_lshlrev_b64 v[66:67], 4, v[56:57]
	v_add_co_ci_u32_e32 v68, vcc_lo, s13, v59, vcc_lo
	ds_read_b128 v[56:59], v65 offset:7776
	ds_read_b128 v[60:63], v65 offset:9072
	v_add_co_u32 v64, vcc_lo, v64, v66
	v_add_co_ci_u32_e32 v65, vcc_lo, v68, v67, vcc_lo
	v_add_co_u32 v66, vcc_lo, v64, s2
	v_add_co_ci_u32_e32 v67, vcc_lo, s3, v65, vcc_lo
	;; [unrolled: 2-line block ×4, first 2 shown]
	s_waitcnt vmcnt(7) lgkmcnt(7)
	v_mul_f64 v[68:69], v[34:35], v[2:3]
	v_mul_f64 v[2:3], v[32:33], v[2:3]
	s_waitcnt vmcnt(6) lgkmcnt(6)
	v_mul_f64 v[70:71], v[38:39], v[6:7]
	v_mul_f64 v[6:7], v[36:37], v[6:7]
	;; [unrolled: 3-line block ×8, first 2 shown]
	v_fma_f64 v[32:33], v[32:33], v[0:1], v[68:69]
	v_fma_f64 v[2:3], v[0:1], v[34:35], -v[2:3]
	v_fma_f64 v[34:35], v[36:37], v[4:5], v[70:71]
	v_fma_f64 v[6:7], v[4:5], v[38:39], -v[6:7]
	;; [unrolled: 2-line block ×8, first 2 shown]
	v_add_co_u32 v48, vcc_lo, v86, s2
	v_add_co_ci_u32_e32 v49, vcc_lo, s3, v87, vcc_lo
	v_mul_f64 v[0:1], v[32:33], s[0:1]
	v_mul_f64 v[2:3], v[2:3], s[0:1]
	v_mul_f64 v[4:5], v[34:35], s[0:1]
	v_mul_f64 v[6:7], v[6:7], s[0:1]
	v_mul_f64 v[8:9], v[36:37], s[0:1]
	v_mul_f64 v[10:11], v[10:11], s[0:1]
	v_mul_f64 v[12:13], v[38:39], s[0:1]
	v_mul_f64 v[14:15], v[14:15], s[0:1]
	v_mul_f64 v[16:17], v[40:41], s[0:1]
	v_mul_f64 v[18:19], v[18:19], s[0:1]
	v_mul_f64 v[20:21], v[42:43], s[0:1]
	v_mul_f64 v[22:23], v[22:23], s[0:1]
	v_mul_f64 v[24:25], v[44:45], s[0:1]
	v_mul_f64 v[26:27], v[26:27], s[0:1]
	v_mul_f64 v[28:29], v[46:47], s[0:1]
	v_mul_f64 v[30:31], v[30:31], s[0:1]
	v_add_co_u32 v32, vcc_lo, v48, s2
	v_add_co_ci_u32_e32 v33, vcc_lo, s3, v49, vcc_lo
	v_add_co_u32 v34, vcc_lo, v32, s2
	v_add_co_ci_u32_e32 v35, vcc_lo, s3, v33, vcc_lo
	;; [unrolled: 2-line block ×3, first 2 shown]
	global_store_dwordx4 v[64:65], v[0:3], off
	global_store_dwordx4 v[66:67], v[4:7], off
	;; [unrolled: 1-line block ×8, first 2 shown]
.LBB0_15:
	s_endpgm
	.section	.rodata,"a",@progbits
	.p2align	6, 0x0
	.amdhsa_kernel bluestein_single_back_len648_dim1_dp_op_CI_CI
		.amdhsa_group_segment_fixed_size 10368
		.amdhsa_private_segment_fixed_size 0
		.amdhsa_kernarg_size 104
		.amdhsa_user_sgpr_count 6
		.amdhsa_user_sgpr_private_segment_buffer 1
		.amdhsa_user_sgpr_dispatch_ptr 0
		.amdhsa_user_sgpr_queue_ptr 0
		.amdhsa_user_sgpr_kernarg_segment_ptr 1
		.amdhsa_user_sgpr_dispatch_id 0
		.amdhsa_user_sgpr_flat_scratch_init 0
		.amdhsa_user_sgpr_private_segment_size 0
		.amdhsa_wavefront_size32 1
		.amdhsa_uses_dynamic_stack 0
		.amdhsa_system_sgpr_private_segment_wavefront_offset 0
		.amdhsa_system_sgpr_workgroup_id_x 1
		.amdhsa_system_sgpr_workgroup_id_y 0
		.amdhsa_system_sgpr_workgroup_id_z 0
		.amdhsa_system_sgpr_workgroup_info 0
		.amdhsa_system_vgpr_workitem_id 0
		.amdhsa_next_free_vgpr 153
		.amdhsa_next_free_sgpr 16
		.amdhsa_reserve_vcc 1
		.amdhsa_reserve_flat_scratch 0
		.amdhsa_float_round_mode_32 0
		.amdhsa_float_round_mode_16_64 0
		.amdhsa_float_denorm_mode_32 3
		.amdhsa_float_denorm_mode_16_64 3
		.amdhsa_dx10_clamp 1
		.amdhsa_ieee_mode 1
		.amdhsa_fp16_overflow 0
		.amdhsa_workgroup_processor_mode 1
		.amdhsa_memory_ordered 1
		.amdhsa_forward_progress 0
		.amdhsa_shared_vgpr_count 0
		.amdhsa_exception_fp_ieee_invalid_op 0
		.amdhsa_exception_fp_denorm_src 0
		.amdhsa_exception_fp_ieee_div_zero 0
		.amdhsa_exception_fp_ieee_overflow 0
		.amdhsa_exception_fp_ieee_underflow 0
		.amdhsa_exception_fp_ieee_inexact 0
		.amdhsa_exception_int_div_zero 0
	.end_amdhsa_kernel
	.text
.Lfunc_end0:
	.size	bluestein_single_back_len648_dim1_dp_op_CI_CI, .Lfunc_end0-bluestein_single_back_len648_dim1_dp_op_CI_CI
                                        ; -- End function
	.section	.AMDGPU.csdata,"",@progbits
; Kernel info:
; codeLenInByte = 6340
; NumSgprs: 18
; NumVgprs: 153
; ScratchSize: 0
; MemoryBound: 0
; FloatMode: 240
; IeeeMode: 1
; LDSByteSize: 10368 bytes/workgroup (compile time only)
; SGPRBlocks: 2
; VGPRBlocks: 19
; NumSGPRsForWavesPerEU: 18
; NumVGPRsForWavesPerEU: 153
; Occupancy: 6
; WaveLimiterHint : 1
; COMPUTE_PGM_RSRC2:SCRATCH_EN: 0
; COMPUTE_PGM_RSRC2:USER_SGPR: 6
; COMPUTE_PGM_RSRC2:TRAP_HANDLER: 0
; COMPUTE_PGM_RSRC2:TGID_X_EN: 1
; COMPUTE_PGM_RSRC2:TGID_Y_EN: 0
; COMPUTE_PGM_RSRC2:TGID_Z_EN: 0
; COMPUTE_PGM_RSRC2:TIDIG_COMP_CNT: 0
	.text
	.p2alignl 6, 3214868480
	.fill 48, 4, 3214868480
	.type	__hip_cuid_5f2d6691bf37aecc,@object ; @__hip_cuid_5f2d6691bf37aecc
	.section	.bss,"aw",@nobits
	.globl	__hip_cuid_5f2d6691bf37aecc
__hip_cuid_5f2d6691bf37aecc:
	.byte	0                               ; 0x0
	.size	__hip_cuid_5f2d6691bf37aecc, 1

	.ident	"AMD clang version 19.0.0git (https://github.com/RadeonOpenCompute/llvm-project roc-6.4.0 25133 c7fe45cf4b819c5991fe208aaa96edf142730f1d)"
	.section	".note.GNU-stack","",@progbits
	.addrsig
	.addrsig_sym __hip_cuid_5f2d6691bf37aecc
	.amdgpu_metadata
---
amdhsa.kernels:
  - .args:
      - .actual_access:  read_only
        .address_space:  global
        .offset:         0
        .size:           8
        .value_kind:     global_buffer
      - .actual_access:  read_only
        .address_space:  global
        .offset:         8
        .size:           8
        .value_kind:     global_buffer
      - .actual_access:  read_only
        .address_space:  global
        .offset:         16
        .size:           8
        .value_kind:     global_buffer
      - .actual_access:  read_only
        .address_space:  global
        .offset:         24
        .size:           8
        .value_kind:     global_buffer
      - .actual_access:  read_only
        .address_space:  global
        .offset:         32
        .size:           8
        .value_kind:     global_buffer
      - .offset:         40
        .size:           8
        .value_kind:     by_value
      - .address_space:  global
        .offset:         48
        .size:           8
        .value_kind:     global_buffer
      - .address_space:  global
        .offset:         56
        .size:           8
        .value_kind:     global_buffer
      - .address_space:  global
        .offset:         64
        .size:           8
        .value_kind:     global_buffer
      - .address_space:  global
        .offset:         72
        .size:           8
        .value_kind:     global_buffer
      - .offset:         80
        .size:           4
        .value_kind:     by_value
      - .address_space:  global
        .offset:         88
        .size:           8
        .value_kind:     global_buffer
      - .address_space:  global
        .offset:         96
        .size:           8
        .value_kind:     global_buffer
    .group_segment_fixed_size: 10368
    .kernarg_segment_align: 8
    .kernarg_segment_size: 104
    .language:       OpenCL C
    .language_version:
      - 2
      - 0
    .max_flat_workgroup_size: 216
    .name:           bluestein_single_back_len648_dim1_dp_op_CI_CI
    .private_segment_fixed_size: 0
    .sgpr_count:     18
    .sgpr_spill_count: 0
    .symbol:         bluestein_single_back_len648_dim1_dp_op_CI_CI.kd
    .uniform_work_group_size: 1
    .uses_dynamic_stack: false
    .vgpr_count:     153
    .vgpr_spill_count: 0
    .wavefront_size: 32
    .workgroup_processor_mode: 1
amdhsa.target:   amdgcn-amd-amdhsa--gfx1030
amdhsa.version:
  - 1
  - 2
...

	.end_amdgpu_metadata
